;; amdgpu-corpus repo=ROCm/rocFFT kind=compiled arch=gfx950 opt=O3
	.text
	.amdgcn_target "amdgcn-amd-amdhsa--gfx950"
	.amdhsa_code_object_version 6
	.protected	fft_rtc_back_len64_factors_8_8_wgs_256_tpt_8_dp_op_CI_CI_sbcc_twdbase8_3step_dirReg_intrinsicRead ; -- Begin function fft_rtc_back_len64_factors_8_8_wgs_256_tpt_8_dp_op_CI_CI_sbcc_twdbase8_3step_dirReg_intrinsicRead
	.globl	fft_rtc_back_len64_factors_8_8_wgs_256_tpt_8_dp_op_CI_CI_sbcc_twdbase8_3step_dirReg_intrinsicRead
	.p2align	8
	.type	fft_rtc_back_len64_factors_8_8_wgs_256_tpt_8_dp_op_CI_CI_sbcc_twdbase8_3step_dirReg_intrinsicRead,@function
fft_rtc_back_len64_factors_8_8_wgs_256_tpt_8_dp_op_CI_CI_sbcc_twdbase8_3step_dirReg_intrinsicRead: ; @fft_rtc_back_len64_factors_8_8_wgs_256_tpt_8_dp_op_CI_CI_sbcc_twdbase8_3step_dirReg_intrinsicRead
; %bb.0:
	s_load_dwordx4 s[20:23], s[0:1], 0x18
	s_load_dwordx2 s[30:31], s[0:1], 0x28
	s_mov_b32 s3, 0
	s_mov_b64 s[24:25], 0
	s_waitcnt lgkmcnt(0)
	s_load_dwordx2 s[28:29], s[20:21], 0x8
	s_waitcnt lgkmcnt(0)
	s_add_u32 s4, s28, -1
	s_addc_u32 s5, s29, -1
	s_lshr_b64 s[4:5], s[4:5], 5
	s_add_u32 s34, s4, 1
	s_addc_u32 s35, s5, 0
	v_mov_b64_e32 v[2:3], s[34:35]
	v_cmp_lt_u64_e32 vcc, s[2:3], v[2:3]
	s_cbranch_vccnz .LBB0_2
; %bb.1:
	v_cvt_f32_u32_e32 v1, s34
	s_sub_i32 s4, 0, s34
	s_mov_b32 s25, s3
	v_rcp_iflag_f32_e32 v1, v1
	s_nop 0
	v_mul_f32_e32 v1, 0x4f7ffffe, v1
	v_cvt_u32_f32_e32 v1, v1
	s_nop 0
	v_readfirstlane_b32 s5, v1
	s_mul_i32 s4, s4, s5
	s_mul_hi_u32 s4, s5, s4
	s_add_i32 s5, s5, s4
	s_mul_hi_u32 s4, s2, s5
	s_mul_i32 s6, s4, s34
	s_sub_i32 s6, s2, s6
	s_add_i32 s5, s4, 1
	s_sub_i32 s7, s6, s34
	s_cmp_ge_u32 s6, s34
	s_cselect_b32 s4, s5, s4
	s_cselect_b32 s6, s7, s6
	s_add_i32 s5, s4, 1
	s_cmp_ge_u32 s6, s34
	s_cselect_b32 s24, s5, s4
.LBB0_2:
	s_load_dwordx4 s[8:11], s[0:1], 0x60
	s_load_dwordx4 s[16:19], s[22:23], 0x0
	;; [unrolled: 1-line block ×3, first 2 shown]
	s_load_dwordx2 s[26:27], s[0:1], 0x0
	s_load_dwordx4 s[12:15], s[0:1], 0x8
	s_mul_i32 s0, s24, s35
	s_mul_hi_u32 s1, s24, s34
	s_add_i32 s1, s1, s0
	s_mul_i32 s0, s24, s34
	s_sub_u32 s0, s2, s0
	s_subb_u32 s1, 0, s1
	v_mov_b32_e32 v1, s0
	s_lshl_b64 s[36:37], s[0:1], 5
	v_alignbit_b32 v1, s1, v1, 27
	s_waitcnt lgkmcnt(0)
	v_mul_lo_u32 v2, s18, v1
	s_mul_hi_u32 s0, s18, s36
	v_add_u32_e32 v2, s0, v2
	s_mul_i32 s0, s19, s36
	v_add_u32_e32 v3, s0, v2
	s_mul_i32 s0, s18, s36
	v_mov_b32_e32 v2, s0
	v_mul_lo_u32 v1, s6, v1
	s_mul_hi_u32 s0, s6, s36
	v_add_u32_e32 v1, s0, v1
	s_mul_i32 s0, s7, s36
	v_add_u32_e32 v59, s0, v1
	s_mul_i32 s0, s6, s36
	v_mov_b32_e32 v58, s0
	v_cmp_lt_u64_e64 s[0:1], s[14:15], 3
	s_and_b64 vcc, exec, s[0:1]
	s_cbranch_vccnz .LBB0_11
; %bb.3:
	s_add_u32 s38, s30, 16
	s_addc_u32 s39, s31, 0
	s_add_u32 s40, s22, 16
	s_addc_u32 s41, s23, 0
	s_add_u32 s20, s20, 16
	s_addc_u32 s21, s21, 0
	s_mov_b64 s[42:43], 2
	s_mov_b32 s44, 0
	v_mov_b64_e32 v[4:5], s[14:15]
	s_branch .LBB0_5
.LBB0_4:                                ;   in Loop: Header=BB0_5 Depth=1
	s_mul_i32 s17, s46, s35
	s_mul_hi_u32 s19, s46, s34
	s_add_i32 s17, s19, s17
	s_mul_i32 s19, s47, s34
	s_add_i32 s35, s17, s19
	s_mul_i32 s17, s0, s47
	s_mul_hi_u32 s19, s0, s46
	s_load_dwordx2 s[48:49], s[40:41], 0x0
	s_add_i32 s17, s19, s17
	s_mul_i32 s19, s1, s46
	s_add_i32 s17, s17, s19
	s_mul_i32 s19, s0, s46
	s_sub_u32 s19, s24, s19
	s_subb_u32 s17, s25, s17
	s_waitcnt lgkmcnt(0)
	s_mul_i32 s24, s48, s17
	s_mul_hi_u32 s25, s48, s19
	s_add_i32 s33, s25, s24
	s_load_dwordx2 s[24:25], s[38:39], 0x0
	s_mul_i32 s45, s49, s19
	s_add_i32 s47, s33, s45
	s_mul_i32 s34, s46, s34
	s_mul_i32 s46, s48, s19
	s_waitcnt lgkmcnt(0)
	s_mul_i32 s17, s24, s17
	s_mul_hi_u32 s33, s24, s19
	s_add_i32 s17, s33, s17
	s_mul_i32 s25, s25, s19
	s_add_i32 s25, s17, s25
	s_add_u32 s42, s42, 1
	s_addc_u32 s43, s43, 0
	s_add_u32 s38, s38, 8
	s_addc_u32 s39, s39, 0
	;; [unrolled: 2-line block ×3, first 2 shown]
	s_mul_i32 s24, s24, s19
	s_add_u32 s20, s20, 8
	v_cmp_ge_u64_e32 vcc, s[42:43], v[4:5]
	v_lshl_add_u64 v[2:3], s[46:47], 0, v[2:3]
	v_lshl_add_u64 v[58:59], s[24:25], 0, v[58:59]
	s_addc_u32 s21, s21, 0
	s_mov_b64 s[24:25], s[0:1]
	s_cbranch_vccnz .LBB0_9
.LBB0_5:                                ; =>This Inner Loop Header: Depth=1
	s_load_dwordx2 s[46:47], s[20:21], 0x0
	s_waitcnt lgkmcnt(0)
	s_or_b64 s[0:1], s[24:25], s[46:47]
	s_mov_b32 s45, s1
	s_cmp_lg_u64 s[44:45], 0
	s_cbranch_scc0 .LBB0_7
; %bb.6:                                ;   in Loop: Header=BB0_5 Depth=1
	v_cvt_f32_u32_e32 v1, s46
	v_cvt_f32_u32_e32 v6, s47
	s_sub_u32 s0, 0, s46
	s_subb_u32 s1, 0, s47
	v_fmac_f32_e32 v1, 0x4f800000, v6
	v_rcp_f32_e32 v1, v1
	s_nop 0
	v_mul_f32_e32 v1, 0x5f7ffffc, v1
	v_mul_f32_e32 v6, 0x2f800000, v1
	v_trunc_f32_e32 v6, v6
	v_fmac_f32_e32 v1, 0xcf800000, v6
	v_cvt_u32_f32_e32 v6, v6
	v_cvt_u32_f32_e32 v1, v1
	v_readfirstlane_b32 s17, v6
	v_readfirstlane_b32 s19, v1
	s_mul_i32 s33, s0, s17
	s_mul_hi_u32 s48, s0, s19
	s_mul_i32 s45, s1, s19
	s_add_i32 s33, s48, s33
	s_mul_i32 s49, s0, s19
	s_add_i32 s33, s33, s45
	s_mul_hi_u32 s45, s19, s33
	s_mul_i32 s48, s19, s33
	s_mul_hi_u32 s19, s19, s49
	s_add_u32 s19, s19, s48
	s_addc_u32 s45, 0, s45
	s_mul_hi_u32 s50, s17, s49
	s_mul_i32 s49, s17, s49
	s_add_u32 s19, s19, s49
	s_mul_hi_u32 s48, s17, s33
	s_addc_u32 s19, s45, s50
	s_addc_u32 s45, s48, 0
	s_mul_i32 s33, s17, s33
	s_add_u32 s19, s19, s33
	s_addc_u32 s33, 0, s45
	v_add_co_u32_e32 v1, vcc, s19, v1
	s_cmp_lg_u64 vcc, 0
	s_addc_u32 s17, s17, s33
	v_readfirstlane_b32 s33, v1
	s_mul_i32 s19, s0, s17
	s_mul_hi_u32 s45, s0, s33
	s_add_i32 s19, s45, s19
	s_mul_i32 s1, s1, s33
	s_add_i32 s19, s19, s1
	s_mul_i32 s0, s0, s33
	s_mul_hi_u32 s45, s17, s0
	s_mul_i32 s48, s17, s0
	s_mul_i32 s50, s33, s19
	s_mul_hi_u32 s0, s33, s0
	s_mul_hi_u32 s49, s33, s19
	s_add_u32 s0, s0, s50
	s_addc_u32 s33, 0, s49
	s_add_u32 s0, s0, s48
	s_mul_hi_u32 s1, s17, s19
	s_addc_u32 s0, s33, s45
	s_addc_u32 s1, s1, 0
	s_mul_i32 s19, s17, s19
	s_add_u32 s0, s0, s19
	s_addc_u32 s1, 0, s1
	v_add_co_u32_e32 v1, vcc, s0, v1
	s_cmp_lg_u64 vcc, 0
	s_addc_u32 s0, s17, s1
	v_readfirstlane_b32 s19, v1
	s_mul_i32 s17, s24, s0
	s_mul_hi_u32 s33, s24, s19
	s_mul_hi_u32 s1, s24, s0
	s_add_u32 s17, s33, s17
	s_addc_u32 s1, 0, s1
	s_mul_hi_u32 s45, s25, s19
	s_mul_i32 s19, s25, s19
	s_add_u32 s17, s17, s19
	s_mul_hi_u32 s33, s25, s0
	s_addc_u32 s1, s1, s45
	s_addc_u32 s17, s33, 0
	s_mul_i32 s0, s25, s0
	s_add_u32 s19, s1, s0
	s_addc_u32 s17, 0, s17
	s_mul_i32 s0, s46, s17
	s_mul_hi_u32 s1, s46, s19
	s_add_i32 s0, s1, s0
	s_mul_i32 s1, s47, s19
	s_add_i32 s33, s0, s1
	s_mul_i32 s1, s46, s19
	v_mov_b32_e32 v1, s1
	s_sub_i32 s0, s25, s33
	v_sub_co_u32_e32 v1, vcc, s24, v1
	s_cmp_lg_u64 vcc, 0
	s_subb_u32 s45, s0, s47
	v_subrev_co_u32_e64 v6, s[0:1], s46, v1
	s_cmp_lg_u64 s[0:1], 0
	s_subb_u32 s0, s45, 0
	s_cmp_ge_u32 s0, s47
	v_readfirstlane_b32 s45, v6
	s_cselect_b32 s1, -1, 0
	s_cmp_ge_u32 s45, s46
	s_cselect_b32 s45, -1, 0
	s_cmp_eq_u32 s0, s47
	s_cselect_b32 s0, s45, s1
	s_add_u32 s1, s19, 1
	s_addc_u32 s45, s17, 0
	s_add_u32 s48, s19, 2
	s_addc_u32 s49, s17, 0
	s_cmp_lg_u32 s0, 0
	s_cselect_b32 s0, s48, s1
	s_cselect_b32 s1, s49, s45
	s_cmp_lg_u64 vcc, 0
	s_subb_u32 s33, s25, s33
	s_cmp_ge_u32 s33, s47
	v_readfirstlane_b32 s48, v1
	s_cselect_b32 s45, -1, 0
	s_cmp_ge_u32 s48, s46
	s_cselect_b32 s48, -1, 0
	s_cmp_eq_u32 s33, s47
	s_cselect_b32 s33, s48, s45
	s_cmp_lg_u32 s33, 0
	s_cselect_b32 s1, s1, s17
	s_cselect_b32 s0, s0, s19
	s_cbranch_execnz .LBB0_4
	s_branch .LBB0_8
.LBB0_7:                                ;   in Loop: Header=BB0_5 Depth=1
                                        ; implicit-def: $sgpr0_sgpr1
.LBB0_8:                                ;   in Loop: Header=BB0_5 Depth=1
	v_cvt_f32_u32_e32 v1, s46
	s_sub_i32 s0, 0, s46
	v_rcp_iflag_f32_e32 v1, v1
	s_nop 0
	v_mul_f32_e32 v1, 0x4f7ffffe, v1
	v_cvt_u32_f32_e32 v1, v1
	s_nop 0
	v_readfirstlane_b32 s1, v1
	s_mul_i32 s0, s0, s1
	s_mul_hi_u32 s0, s1, s0
	s_add_i32 s1, s1, s0
	s_mul_hi_u32 s0, s24, s1
	s_mul_i32 s17, s0, s46
	s_sub_i32 s17, s24, s17
	s_add_i32 s1, s0, 1
	s_sub_i32 s19, s17, s46
	s_cmp_ge_u32 s17, s46
	s_cselect_b32 s0, s1, s0
	s_cselect_b32 s17, s19, s17
	s_add_i32 s1, s0, 1
	s_cmp_ge_u32 s17, s46
	s_cselect_b32 s0, s1, s0
	s_mov_b32 s1, s44
	s_branch .LBB0_4
.LBB0_9:
	v_mov_b64_e32 v[4:5], s[34:35]
	v_cmp_lt_u64_e32 vcc, s[2:3], v[4:5]
	s_mov_b64 s[24:25], 0
	s_cbranch_vccnz .LBB0_11
; %bb.10:
	v_cvt_f32_u32_e32 v1, s34
	s_sub_i32 s0, 0, s34
	v_rcp_iflag_f32_e32 v1, v1
	s_nop 0
	v_mul_f32_e32 v1, 0x4f7ffffe, v1
	v_cvt_u32_f32_e32 v1, v1
	s_nop 0
	v_readfirstlane_b32 s1, v1
	s_mul_i32 s0, s0, s1
	s_mul_hi_u32 s0, s1, s0
	s_add_i32 s1, s1, s0
	s_mul_hi_u32 s0, s2, s1
	s_mul_i32 s3, s0, s34
	s_sub_i32 s2, s2, s3
	s_add_i32 s1, s0, 1
	s_sub_i32 s3, s2, s34
	s_cmp_ge_u32 s2, s34
	s_cselect_b32 s0, s1, s0
	s_cselect_b32 s2, s3, s2
	s_add_i32 s1, s0, 1
	s_cmp_ge_u32 s2, s34
	s_cselect_b32 s24, s1, s0
.LBB0_11:
	s_lshl_b64 s[0:1], s[14:15], 3
	s_add_u32 s2, s22, s0
	s_addc_u32 s3, s23, s1
	s_load_dwordx2 s[2:3], s[2:3], 0x0
	v_and_b32_e32 v1, 31, v0
	v_mov_b64_e32 v[4:5], s[28:29]
	v_or_b32_e32 v60, s36, v1
	v_mov_b32_e32 v61, s37
	s_waitcnt lgkmcnt(0)
	s_mul_i32 s3, s3, s24
	s_mul_hi_u32 s14, s2, s24
	s_mul_i32 s2, s2, s24
	s_add_i32 s3, s14, s3
	v_lshl_add_u64 v[34:35], s[2:3], 0, v[2:3]
	s_add_u32 s2, s30, s0
	s_addc_u32 s3, s31, s1
	s_add_u32 s0, s36, 32
	s_addc_u32 s1, s37, 0
	v_cmp_le_u64_e32 vcc, s[0:1], v[4:5]
	v_mad_u64_u32 v[36:37], s[0:1], s18, v1, 0
	v_cmp_gt_u64_e64 s[0:1], s[28:29], v[60:61]
	v_mov_b64_e32 v[4:5], 0
	v_mov_b32_e32 v3, 0
	v_lshrrev_b32_e32 v64, 5, v0
	s_or_b64 s[14:15], vcc, s[0:1]
	v_mov_b64_e32 v[8:9], v[4:5]
	v_mov_b64_e32 v[6:7], v[4:5]
	s_and_saveexec_b64 s[0:1], s[14:15]
	s_cbranch_execz .LBB0_13
; %bb.12:
	v_mul_lo_u32 v2, s16, v64
	v_add3_u32 v2, v34, v36, v2
	v_lshl_add_u64 v[2:3], v[2:3], 4, s[8:9]
	global_load_dwordx4 v[6:9], v[2:3], off
.LBB0_13:
	s_or_b64 exec, exec, s[0:1]
	v_mov_b64_e32 v[2:3], v[4:5]
	s_and_saveexec_b64 s[0:1], s[14:15]
	s_cbranch_execz .LBB0_15
; %bb.14:
	v_add_u32_e32 v2, 8, v64
	v_mul_lo_u32 v2, s16, v2
	v_add3_u32 v2, v34, v36, v2
	v_mov_b32_e32 v3, 0
	v_lshl_add_u64 v[2:3], v[2:3], 4, s[8:9]
	global_load_dwordx4 v[2:5], v[2:3], off
.LBB0_15:
	s_or_b64 exec, exec, s[0:1]
	v_mov_b64_e32 v[12:13], 0
	v_mov_b64_e32 v[16:17], v[12:13]
	v_mov_b64_e32 v[14:15], v[12:13]
	s_and_saveexec_b64 s[0:1], s[14:15]
	s_cbranch_execz .LBB0_17
; %bb.16:
	v_add_u32_e32 v10, 16, v64
	v_mul_lo_u32 v10, s16, v10
	v_add3_u32 v10, v34, v36, v10
	v_mov_b32_e32 v11, 0
	v_lshl_add_u64 v[10:11], v[10:11], 4, s[8:9]
	global_load_dwordx4 v[14:17], v[10:11], off
.LBB0_17:
	s_or_b64 exec, exec, s[0:1]
	v_mov_b64_e32 v[10:11], v[12:13]
	s_and_saveexec_b64 s[0:1], s[14:15]
	s_cbranch_execz .LBB0_19
; %bb.18:
	v_add_u32_e32 v10, 24, v64
	v_mul_lo_u32 v10, s16, v10
	v_add3_u32 v10, v34, v36, v10
	v_mov_b32_e32 v11, 0
	v_lshl_add_u64 v[10:11], v[10:11], 4, s[8:9]
	global_load_dwordx4 v[10:13], v[10:11], off
.LBB0_19:
	s_or_b64 exec, exec, s[0:1]
	v_mov_b64_e32 v[20:21], 0
	v_mov_b64_e32 v[24:25], v[20:21]
	v_mov_b64_e32 v[22:23], v[20:21]
	s_and_saveexec_b64 s[0:1], s[14:15]
	s_cbranch_execz .LBB0_21
; %bb.20:
	v_or_b32_e32 v18, 32, v64
	v_mul_lo_u32 v18, s16, v18
	v_add3_u32 v18, v34, v36, v18
	v_mov_b32_e32 v19, 0
	v_lshl_add_u64 v[18:19], v[18:19], 4, s[8:9]
	global_load_dwordx4 v[22:25], v[18:19], off
.LBB0_21:
	s_or_b64 exec, exec, s[0:1]
	v_mov_b64_e32 v[18:19], v[20:21]
	s_and_saveexec_b64 s[0:1], s[14:15]
	s_cbranch_execz .LBB0_23
; %bb.22:
	v_add_u32_e32 v18, 40, v64
	v_mul_lo_u32 v18, s16, v18
	v_add3_u32 v18, v34, v36, v18
	v_mov_b32_e32 v19, 0
	v_lshl_add_u64 v[18:19], v[18:19], 4, s[8:9]
	global_load_dwordx4 v[18:21], v[18:19], off
.LBB0_23:
	s_or_b64 exec, exec, s[0:1]
	v_mov_b64_e32 v[28:29], 0
	v_mov_b64_e32 v[32:33], v[28:29]
	;; [unrolled: 1-line block ×3, first 2 shown]
	s_and_saveexec_b64 s[0:1], s[14:15]
	s_cbranch_execz .LBB0_25
; %bb.24:
	v_add_u32_e32 v26, 48, v64
	v_mul_lo_u32 v26, s16, v26
	v_add3_u32 v26, v34, v36, v26
	v_mov_b32_e32 v27, 0
	v_lshl_add_u64 v[26:27], v[26:27], 4, s[8:9]
	global_load_dwordx4 v[30:33], v[26:27], off
.LBB0_25:
	s_or_b64 exec, exec, s[0:1]
	v_mov_b64_e32 v[26:27], v[28:29]
	s_and_saveexec_b64 s[0:1], s[14:15]
	s_cbranch_execz .LBB0_27
; %bb.26:
	v_add_u32_e32 v26, 56, v64
	v_mul_lo_u32 v26, s16, v26
	v_add3_u32 v26, v34, v36, v26
	v_mov_b32_e32 v27, 0
	v_lshl_add_u64 v[26:27], v[26:27], 4, s[8:9]
	global_load_dwordx4 v[26:29], v[26:27], off
.LBB0_27:
	s_or_b64 exec, exec, s[0:1]
	s_waitcnt vmcnt(0)
	v_add_f64 v[22:23], v[6:7], -v[22:23]
	v_add_f64 v[24:25], v[8:9], -v[24:25]
	;; [unrolled: 1-line block ×8, first 2 shown]
	s_load_dwordx2 s[0:1], s[2:3], 0x0
	v_fma_f64 v[6:7], v[6:7], 2.0, -v[22:23]
	v_fma_f64 v[8:9], v[8:9], 2.0, -v[24:25]
	;; [unrolled: 1-line block ×8, first 2 shown]
	v_add_f64 v[32:33], v[22:23], v[32:33]
	v_add_f64 v[38:39], v[24:25], -v[30:31]
	v_add_f64 v[40:41], v[20:21], -v[26:27]
	s_mov_b32 s2, 0x667f3bcd
	v_add_f64 v[34:35], v[6:7], -v[14:15]
	v_add_f64 v[36:37], v[8:9], -v[16:17]
	v_fma_f64 v[14:15], v[22:23], 2.0, -v[32:33]
	v_fma_f64 v[16:17], v[24:25], 2.0, -v[38:39]
	v_add_f64 v[22:23], v[2:3], -v[10:11]
	v_add_f64 v[24:25], v[4:5], -v[12:13]
	v_add_f64 v[30:31], v[18:19], v[28:29]
	v_fma_f64 v[20:21], v[20:21], 2.0, -v[40:41]
	s_mov_b32 s3, 0xbfe6a09e
	v_fma_f64 v[6:7], v[6:7], 2.0, -v[34:35]
	v_fma_f64 v[8:9], v[8:9], 2.0, -v[36:37]
	;; [unrolled: 1-line block ×5, first 2 shown]
	v_fma_f64 v[12:13], s[2:3], v[20:21], v[16:17]
	s_mov_b32 s9, 0x3fe6a09e
	s_mov_b32 s8, s2
	v_add_f64 v[2:3], v[6:7], -v[2:3]
	v_add_f64 v[4:5], v[8:9], -v[4:5]
	v_fma_f64 v[10:11], s[2:3], v[18:19], v[14:15]
	v_fmac_f64_e32 v[12:13], s[2:3], v[18:19]
	v_add_f64 v[18:19], v[34:35], v[24:25]
	v_fma_f64 v[26:27], s[8:9], v[30:31], v[32:33]
	v_fma_f64 v[28:29], s[8:9], v[40:41], v[38:39]
	v_lshl_add_u32 v54, v64, 12, 0
	v_fma_f64 v[6:7], v[6:7], 2.0, -v[2:3]
	v_fma_f64 v[8:9], v[8:9], 2.0, -v[4:5]
	v_fmac_f64_e32 v[10:11], s[8:9], v[20:21]
	v_add_f64 v[20:21], v[36:37], -v[22:23]
	v_fma_f64 v[22:23], v[34:35], 2.0, -v[18:19]
	v_fmac_f64_e32 v[26:27], s[8:9], v[40:41]
	v_fmac_f64_e32 v[28:29], s[2:3], v[30:31]
	v_lshl_add_u32 v34, v1, 4, v54
	v_fma_f64 v[14:15], v[14:15], 2.0, -v[10:11]
	v_fma_f64 v[16:17], v[16:17], 2.0, -v[12:13]
	;; [unrolled: 1-line block ×5, first 2 shown]
	ds_write_b128 v34, v[6:9]
	ds_write_b128 v34, v[14:17] offset:512
	ds_write_b128 v34, v[22:25] offset:1024
	;; [unrolled: 1-line block ×7, first 2 shown]
	s_waitcnt lgkmcnt(0)
	s_barrier
	s_and_saveexec_b64 s[16:17], s[14:15]
	s_cbranch_execz .LBB0_29
; %bb.28:
	v_bfe_u32 v61, v0, 5, 3
	v_mul_u32_u24_e32 v2, 7, v61
	v_lshlrev_b32_e32 v26, 4, v2
	global_load_dwordx4 v[2:5], v26, s[26:27]
	global_load_dwordx4 v[18:21], v26, s[26:27] offset:64
	global_load_dwordx4 v[14:17], v26, s[26:27] offset:32
	;; [unrolled: 1-line block ×4, first 2 shown]
	v_or_b32_e32 v22, 56, v64
	v_mov_b32_e32 v65, 4
	v_mul_lo_u32 v67, v60, v22
	v_or_b32_e32 v30, 48, v61
	v_mov_b32_e32 v66, 0x1000
	v_lshlrev_b32_sdwa v38, v65, v67 dst_sel:DWORD dst_unused:UNUSED_PAD src0_sel:DWORD src1_sel:BYTE_0
	v_bfe_u32 v31, v67, 8, 8
	v_mul_lo_u32 v86, v60, v30
	global_load_dwordx4 v[22:25], v26, s[26:27] offset:16
	v_lshl_or_b32 v39, v31, 4, v66
	global_load_dwordx4 v[26:29], v26, s[26:27] offset:80
	s_nop 0
	global_load_dwordx4 v[30:33], v38, s[12:13]
	global_load_dwordx4 v[34:37], v39, s[12:13]
	v_lshlrev_b32_sdwa v42, v65, v86 dst_sel:DWORD dst_unused:UNUSED_PAD src0_sel:DWORD src1_sel:BYTE_0
	v_bfe_u32 v38, v86, 8, 8
	v_lshl_or_b32 v43, v38, 4, v66
	global_load_dwordx4 v[38:41], v42, s[12:13]
	global_load_dwordx4 v[50:53], v43, s[12:13]
	v_or_b32_e32 v42, 40, v61
	v_mul_lo_u32 v90, v60, v42
	v_lshlrev_b32_sdwa v55, v65, v90 dst_sel:DWORD dst_unused:UNUSED_PAD src0_sel:DWORD src1_sel:BYTE_0
	v_bfe_u32 v42, v90, 8, 8
	v_lshl_or_b32 v56, v42, 4, v66
	global_load_dwordx4 v[42:45], v55, s[12:13]
	global_load_dwordx4 v[46:49], v56, s[12:13]
	v_mul_i32_i24_e32 v55, 0xfffff200, v64
	v_lshlrev_b32_e32 v56, 4, v1
	v_add3_u32 v87, v54, v55, v56
	ds_read_b128 v[68:71], v87 offset:4096
	ds_read_b128 v[72:75], v87 offset:20480
	;; [unrolled: 1-line block ×3, first 2 shown]
	ds_read_b128 v[54:57], v87
	v_mov_b32_e32 v106, 0x2000
	v_or_b32_e32 v88, 32, v61
	v_mul_lo_u32 v91, v60, v88
	s_mul_i32 s1, s1, s24
	v_lshrrev_b32_e32 v0, 2, v0
	s_waitcnt vmcnt(12) lgkmcnt(3)
	v_mul_f64 v[80:81], v[68:69], v[4:5]
	v_mul_f64 v[62:63], v[70:71], v[4:5]
	v_fma_f64 v[4:5], v[70:71], v[2:3], -v[80:81]
	v_fmac_f64_e32 v[62:63], v[68:69], v[2:3]
	ds_read_b128 v[68:71], v87 offset:12288
	ds_read_b128 v[80:83], v87 offset:8192
	s_waitcnt vmcnt(11) lgkmcnt(4)
	v_mul_f64 v[2:3], v[72:73], v[20:21]
	v_mul_f64 v[84:85], v[74:75], v[20:21]
	v_fma_f64 v[74:75], v[74:75], v[18:19], -v[2:3]
	v_fmac_f64_e32 v[84:85], v[72:73], v[18:19]
	s_waitcnt vmcnt(10) lgkmcnt(1)
	v_mul_f64 v[18:19], v[70:71], v[16:17]
	v_mul_f64 v[2:3], v[68:69], v[16:17]
	v_fmac_f64_e32 v[18:19], v[68:69], v[14:15]
	v_fma_f64 v[2:3], v[70:71], v[14:15], -v[2:3]
	ds_read_b128 v[14:17], v87 offset:28672
	ds_read_b128 v[68:71], v87 offset:24576
	v_bfe_u32 v20, v67, 16, 8
	v_bfe_u32 v21, v86, 16, 8
	v_lshl_or_b32 v20, v20, 4, v106
	s_waitcnt vmcnt(9) lgkmcnt(1)
	v_mul_f64 v[72:73], v[16:17], v[12:13]
	v_mul_f64 v[12:13], v[14:15], v[12:13]
	v_fmac_f64_e32 v[72:73], v[14:15], v[10:11]
	v_fma_f64 v[86:87], v[16:17], v[10:11], -v[12:13]
	v_lshl_or_b32 v16, v21, 4, v106
	s_waitcnt vmcnt(8)
	v_mul_f64 v[14:15], v[76:77], v[8:9]
	v_mul_f64 v[88:89], v[78:79], v[8:9]
	global_load_dwordx4 v[10:13], v20, s[12:13]
	v_fma_f64 v[78:79], v[78:79], v[6:7], -v[14:15]
	global_load_dwordx4 v[14:17], v16, s[12:13]
	v_fmac_f64_e32 v[88:89], v[76:77], v[6:7]
	s_waitcnt vmcnt(9)
	v_mul_f64 v[6:7], v[82:83], v[24:25]
	v_mul_f64 v[8:9], v[80:81], v[24:25]
	s_waitcnt vmcnt(8) lgkmcnt(0)
	v_mul_f64 v[76:77], v[70:71], v[28:29]
	v_mul_f64 v[20:21], v[68:69], v[28:29]
	v_fmac_f64_e32 v[6:7], v[80:81], v[22:23]
	v_fma_f64 v[8:9], v[82:83], v[22:23], -v[8:9]
	v_fmac_f64_e32 v[76:77], v[68:69], v[26:27]
	v_fma_f64 v[68:69], v[70:71], v[26:27], -v[20:21]
	s_waitcnt vmcnt(6)
	v_mul_f64 v[20:21], v[32:33], v[36:37]
	v_bfe_u32 v22, v91, 8, 8
	v_lshlrev_b32_sdwa v67, v65, v91 dst_sel:DWORD dst_unused:UNUSED_PAD src0_sel:DWORD src1_sel:BYTE_0
	v_mul_f64 v[70:71], v[30:31], v[36:37]
	v_fma_f64 v[80:81], v[30:31], v[34:35], -v[20:21]
	s_waitcnt vmcnt(4)
	v_mul_f64 v[20:21], v[40:41], v[52:53]
	v_lshl_or_b32 v28, v22, 4, v66
	s_waitcnt vmcnt(2)
	v_mul_f64 v[36:37], v[44:45], v[48:49]
	v_fmac_f64_e32 v[70:71], v[32:33], v[34:35]
	v_fma_f64 v[82:83], v[38:39], v[50:51], -v[20:21]
	global_load_dwordx4 v[20:23], v67, s[12:13]
	global_load_dwordx4 v[24:27], v28, s[12:13]
	v_bfe_u32 v28, v90, 16, 8
	v_bfe_u32 v32, v91, 16, 8
	v_mul_f64 v[90:91], v[42:43], v[48:49]
	v_fma_f64 v[92:93], v[42:43], v[46:47], -v[36:37]
	v_or_b32_e32 v36, 24, v64
	v_fmac_f64_e32 v[90:91], v[44:45], v[46:47]
	v_mul_lo_u32 v46, v60, v36
	v_bfe_u32 v36, v46, 8, 8
	v_mul_f64 v[52:53], v[38:39], v[52:53]
	v_lshl_or_b32 v28, v28, 4, v106
	v_lshl_or_b32 v32, v32, 4, v106
	;; [unrolled: 1-line block ×3, first 2 shown]
	v_fmac_f64_e32 v[52:53], v[40:41], v[50:51]
	global_load_dwordx4 v[28:31], v28, s[12:13]
	v_lshlrev_b32_sdwa v45, v65, v46 dst_sel:DWORD dst_unused:UNUSED_PAD src0_sel:DWORD src1_sel:BYTE_0
	global_load_dwordx4 v[32:35], v32, s[12:13]
	s_nop 0
	global_load_dwordx4 v[36:39], v44, s[12:13]
	global_load_dwordx4 v[40:43], v45, s[12:13]
	v_add_f64 v[88:89], v[54:55], -v[88:89]
	v_add_f64 v[68:69], v[8:9], -v[68:69]
	;; [unrolled: 1-line block ×5, first 2 shown]
	v_fma_f64 v[6:7], v[6:7], 2.0, -v[76:77]
	v_fma_f64 v[8:9], v[8:9], 2.0, -v[68:69]
	;; [unrolled: 1-line block ×3, first 2 shown]
	s_waitcnt vmcnt(4)
	v_mul_f64 v[44:45], v[22:23], v[26:27]
	v_fma_f64 v[94:95], v[20:21], v[24:25], -v[44:45]
	v_mul_f64 v[96:97], v[20:21], v[26:27]
	v_or_b32_e32 v20, 16, v61
	v_mul_lo_u32 v47, v60, v20
	v_fmac_f64_e32 v[96:97], v[22:23], v[24:25]
	v_bfe_u32 v20, v46, 16, 8
	v_bfe_u32 v24, v47, 16, 8
	v_lshl_or_b32 v20, v20, 4, v106
	v_lshl_or_b32 v24, v24, 4, v106
	global_load_dwordx4 v[20:23], v20, s[12:13]
	s_waitcnt vmcnt(1)
	v_mul_f64 v[44:45], v[42:43], v[38:39]
	global_load_dwordx4 v[24:27], v24, s[12:13]
	v_mul_f64 v[100:101], v[40:41], v[38:39]
	v_fma_f64 v[98:99], v[40:41], v[36:37], -v[44:45]
	v_fmac_f64_e32 v[100:101], v[42:43], v[36:37]
	v_lshlrev_b32_sdwa v44, v65, v47 dst_sel:DWORD dst_unused:UNUSED_PAD src0_sel:DWORD src1_sel:BYTE_0
	v_bfe_u32 v36, v47, 8, 8
	v_lshl_or_b32 v45, v36, 4, v66
	global_load_dwordx4 v[36:39], v44, s[12:13]
	global_load_dwordx4 v[40:43], v45, s[12:13]
	s_waitcnt vmcnt(0)
	v_mul_f64 v[44:45], v[38:39], v[42:43]
	v_fma_f64 v[102:103], v[36:37], v[40:41], -v[44:45]
	v_mul_f64 v[104:105], v[36:37], v[42:43]
	v_or_b32_e32 v36, 8, v61
	v_mul_lo_u32 v36, v60, v36
	v_mul_lo_u32 v60, v60, v61
	v_bfe_u32 v37, v36, 16, 8
	v_lshl_or_b32 v64, v37, 4, v106
	v_bfe_u32 v37, v60, 16, 8
	v_lshl_or_b32 v67, v37, 4, v106
	;; [unrolled: 2-line block ×3, first 2 shown]
	v_fmac_f64_e32 v[104:105], v[38:39], v[40:41]
	v_lshlrev_b32_sdwa v107, v65, v36 dst_sel:DWORD dst_unused:UNUSED_PAD src0_sel:DWORD src1_sel:BYTE_0
	global_load_dwordx4 v[36:39], v106, s[12:13]
	global_load_dwordx4 v[40:43], v107, s[12:13]
	;; [unrolled: 1-line block ×4, first 2 shown]
	s_waitcnt vmcnt(2)
	v_mul_f64 v[106:107], v[42:43], v[38:39]
	v_mul_f64 v[38:39], v[40:41], v[38:39]
	v_fma_f64 v[106:107], v[40:41], v[36:37], -v[106:107]
	v_fmac_f64_e32 v[38:39], v[42:43], v[36:37]
	v_mul_f64 v[36:37], v[70:71], v[12:13]
	v_mul_f64 v[40:41], v[80:81], v[12:13]
	v_fma_f64 v[36:37], v[10:11], v[80:81], -v[36:37]
	v_fmac_f64_e32 v[40:41], v[10:11], v[70:71]
	v_mul_f64 v[10:11], v[52:53], v[16:17]
	v_fma_f64 v[42:43], v[14:15], v[82:83], -v[10:11]
	v_mul_f64 v[70:71], v[82:83], v[16:17]
	v_mul_f64 v[10:11], v[90:91], v[30:31]
	;; [unrolled: 1-line block ×3, first 2 shown]
	v_fmac_f64_e32 v[70:71], v[14:15], v[52:53]
	v_fma_f64 v[52:53], v[28:29], v[92:93], -v[10:11]
	v_fmac_f64_e32 v[80:81], v[28:29], v[90:91]
	v_mul_f64 v[10:11], v[96:97], v[34:35]
	v_mul_f64 v[90:91], v[94:95], v[34:35]
	v_add_f64 v[34:35], v[56:57], -v[78:79]
	v_add_f64 v[78:79], v[62:63], -v[84:85]
	;; [unrolled: 1-line block ×3, first 2 shown]
	v_fma_f64 v[82:83], v[32:33], v[94:95], -v[10:11]
	v_fmac_f64_e32 v[90:91], v[32:33], v[96:97]
	v_mul_f64 v[10:11], v[100:101], v[22:23]
	v_mul_f64 v[14:15], v[98:99], v[22:23]
	v_add_f64 v[94:95], v[78:79], v[84:85]
	v_add_f64 v[96:97], v[88:89], v[68:69]
	v_fma_f64 v[28:29], v[20:21], v[98:99], -v[10:11]
	v_fmac_f64_e32 v[14:15], v[20:21], v[100:101]
	v_add_f64 v[86:87], v[34:35], -v[76:77]
	v_add_f64 v[92:93], v[74:75], -v[72:73]
	v_fma_f64 v[20:21], s[8:9], v[94:95], v[96:97]
	v_mul_f64 v[10:11], v[104:105], v[26:27]
	v_fma_f64 v[16:17], s[8:9], v[92:93], v[86:87]
	v_fmac_f64_e32 v[20:21], s[8:9], v[92:93]
	v_fma_f64 v[30:31], v[24:25], v[102:103], -v[10:11]
	v_fmac_f64_e32 v[16:17], s[2:3], v[94:95]
	v_mul_f64 v[10:11], v[20:21], v[40:41]
	v_fma_f64 v[12:13], v[16:17], v[36:37], -v[10:11]
	v_mul_f64 v[10:11], v[16:17], v[40:41]
	v_fmac_f64_e32 v[10:11], v[20:21], v[36:37]
	v_fma_f64 v[22:23], v[86:87], 2.0, -v[16:17]
	v_fma_f64 v[20:21], v[96:97], 2.0, -v[20:21]
	v_mul_f64 v[16:17], v[20:21], v[14:15]
	v_mul_f64 v[14:15], v[22:23], v[14:15]
	;; [unrolled: 1-line block ×3, first 2 shown]
	v_fma_f64 v[16:17], v[22:23], v[28:29], -v[16:17]
	v_fmac_f64_e32 v[14:15], v[20:21], v[28:29]
	v_lshlrev_b32_sdwa v28, v65, v60 dst_sel:DWORD dst_unused:UNUSED_PAD src0_sel:DWORD src1_sel:BYTE_0
	v_bfe_u32 v20, v60, 8, 8
	v_fmac_f64_e32 v[32:33], v[24:25], v[104:105]
	v_lshl_or_b32 v29, v20, 4, v66
	global_load_dwordx4 v[20:23], v28, s[12:13]
	global_load_dwordx4 v[24:27], v29, s[12:13]
	v_fma_f64 v[40:41], v[54:55], 2.0, -v[88:89]
	v_fma_f64 v[2:3], v[2:3], 2.0, -v[84:85]
	;; [unrolled: 1-line block ×5, first 2 shown]
	v_add_f64 v[62:63], v[40:41], -v[6:7]
	v_add_f64 v[66:67], v[64:65], -v[2:3]
	;; [unrolled: 1-line block ×4, first 2 shown]
	v_add_f64 v[8:9], v[62:63], v[66:67]
	v_add_f64 v[6:7], v[54:55], -v[18:19]
	v_mul_f64 v[2:3], v[8:9], v[70:71]
	v_fma_f64 v[4:5], v[6:7], v[42:43], -v[2:3]
	v_mul_f64 v[2:3], v[6:7], v[70:71]
	v_fma_f64 v[28:29], v[62:63], 2.0, -v[8:9]
	v_fmac_f64_e32 v[2:3], v[8:9], v[42:43]
	v_fma_f64 v[6:7], v[54:55], 2.0, -v[6:7]
	v_mul_f64 v[8:9], v[28:29], v[32:33]
	v_fma_f64 v[8:9], v[6:7], v[30:31], -v[8:9]
	v_mul_f64 v[6:7], v[6:7], v[32:33]
	v_fmac_f64_e32 v[6:7], v[28:29], v[30:31]
	v_fma_f64 v[30:31], v[78:79], 2.0, -v[94:95]
	v_fma_f64 v[68:69], v[88:89], 2.0, -v[96:97]
	;; [unrolled: 1-line block ×4, first 2 shown]
	v_fma_f64 v[72:73], s[2:3], v[30:31], v[68:69]
	v_fma_f64 v[70:71], s[2:3], v[28:29], v[42:43]
	v_fmac_f64_e32 v[72:73], s[8:9], v[28:29]
	v_fmac_f64_e32 v[70:71], s[2:3], v[30:31]
	v_mul_f64 v[28:29], v[72:73], v[80:81]
	v_fma_f64 v[30:31], v[70:71], v[52:53], -v[28:29]
	v_mul_f64 v[28:29], v[70:71], v[80:81]
	v_fma_f64 v[40:41], v[40:41], 2.0, -v[62:63]
	v_fma_f64 v[18:19], v[56:57], 2.0, -v[18:19]
	v_fmac_f64_e32 v[28:29], v[72:73], v[52:53]
	v_fma_f64 v[52:53], v[36:37], 2.0, -v[54:55]
	v_fma_f64 v[32:33], v[64:65], 2.0, -v[66:67]
	v_add_f64 v[18:19], v[40:41], -v[18:19]
	s_waitcnt vmcnt(3)
	v_mul_f64 v[56:57], v[38:39], v[46:47]
	v_mul_f64 v[46:47], v[106:107], v[46:47]
	v_add_f64 v[54:55], v[52:53], -v[32:33]
	v_mul_f64 v[32:33], v[18:19], v[90:91]
	v_fma_f64 v[36:37], v[42:43], 2.0, -v[70:71]
	v_fma_f64 v[42:43], v[68:69], 2.0, -v[72:73]
	v_fma_f64 v[56:57], v[44:45], v[106:107], -v[56:57]
	v_fmac_f64_e32 v[46:47], v[44:45], v[38:39]
	v_fma_f64 v[34:35], v[54:55], v[82:83], -v[32:33]
	v_mul_f64 v[32:33], v[54:55], v[90:91]
	v_mul_f64 v[38:39], v[42:43], v[46:47]
	v_fma_f64 v[38:39], v[36:37], v[56:57], -v[38:39]
	v_mul_f64 v[36:37], v[36:37], v[46:47]
	v_fmac_f64_e32 v[32:33], v[18:19], v[82:83]
	v_fmac_f64_e32 v[36:37], v[42:43], v[56:57]
	v_fma_f64 v[42:43], v[52:53], 2.0, -v[54:55]
	s_mul_hi_u32 s2, s0, s24
	s_add_i32 s1, s2, s1
	s_mul_i32 s0, s0, s24
	s_lshl_b64 s[0:1], s[0:1], 4
	s_add_u32 s0, s10, s0
	s_addc_u32 s1, s11, s1
	s_waitcnt vmcnt(0)
	v_mul_f64 v[44:45], v[22:23], v[26:27]
	v_fma_f64 v[44:45], v[20:21], v[24:25], -v[44:45]
	v_mul_f64 v[20:21], v[20:21], v[26:27]
	v_fmac_f64_e32 v[20:21], v[22:23], v[24:25]
	v_fma_f64 v[24:25], v[40:41], 2.0, -v[18:19]
	v_mul_f64 v[18:19], v[44:45], v[50:51]
	v_mul_f64 v[22:23], v[20:21], v[50:51]
	v_fmac_f64_e32 v[18:19], v[48:49], v[20:21]
	v_fma_f64 v[22:23], v[48:49], v[44:45], -v[22:23]
	v_mul_f64 v[20:21], v[24:25], v[18:19]
	v_mul_f64 v[18:19], v[42:43], v[18:19]
	v_fma_f64 v[20:21], v[42:43], v[22:23], -v[20:21]
	v_fmac_f64_e32 v[18:19], v[24:25], v[22:23]
	v_mad_u64_u32 v[22:23], s[2:3], s6, v1, 0
	v_mov_b32_e32 v24, v23
	v_mad_u64_u32 v[24:25], s[2:3], s7, v1, v[24:25]
	s_movk_i32 s2, 0xc0
	s_nop 0
	v_and_or_b32 v26, v0, s2, v61
	v_mad_u64_u32 v[0:1], s[2:3], s4, v26, 0
	v_mov_b32_e32 v23, v24
	v_mov_b32_e32 v24, v1
	v_mad_u64_u32 v[24:25], s[2:3], s5, v26, v[24:25]
	v_mov_b32_e32 v1, v24
	v_lshlrev_b64 v[24:25], 4, v[58:59]
	v_lshl_add_u64 v[24:25], s[0:1], 0, v[24:25]
	v_lshl_add_u64 v[22:23], v[22:23], 4, v[24:25]
	;; [unrolled: 1-line block ×3, first 2 shown]
	global_store_dwordx4 v[0:1], v[18:21], off
	s_nop 1
	v_or_b32_e32 v19, 8, v26
	v_mad_u64_u32 v[0:1], s[0:1], s4, v19, 0
	v_mov_b32_e32 v18, v1
	v_mad_u64_u32 v[18:19], s[0:1], s5, v19, v[18:19]
	v_mov_b32_e32 v1, v18
	v_lshl_add_u64 v[0:1], v[0:1], 4, v[22:23]
	v_or_b32_e32 v19, 16, v26
	global_store_dwordx4 v[0:1], v[36:39], off
	v_mad_u64_u32 v[0:1], s[0:1], s4, v19, 0
	v_mov_b32_e32 v18, v1
	v_mad_u64_u32 v[18:19], s[0:1], s5, v19, v[18:19]
	v_mov_b32_e32 v1, v18
	v_lshl_add_u64 v[0:1], v[0:1], 4, v[22:23]
	global_store_dwordx4 v[0:1], v[6:9], off
	s_nop 1
	v_or_b32_e32 v7, 24, v26
	v_mad_u64_u32 v[0:1], s[0:1], s4, v7, 0
	v_mov_b32_e32 v6, v1
	v_mad_u64_u32 v[6:7], s[0:1], s5, v7, v[6:7]
	v_mov_b32_e32 v1, v6
	v_lshl_add_u64 v[0:1], v[0:1], 4, v[22:23]
	v_or_b32_e32 v7, 32, v26
	global_store_dwordx4 v[0:1], v[14:17], off
	v_mad_u64_u32 v[0:1], s[0:1], s4, v7, 0
	v_mov_b32_e32 v6, v1
	v_mad_u64_u32 v[6:7], s[0:1], s5, v7, v[6:7]
	v_mov_b32_e32 v1, v6
	v_lshl_add_u64 v[0:1], v[0:1], 4, v[22:23]
	v_or_b32_e32 v7, 40, v26
	global_store_dwordx4 v[0:1], v[32:35], off
	;; [unrolled: 7-line block ×3, first 2 shown]
	v_mad_u64_u32 v[0:1], s[0:1], s4, v7, 0
	v_mov_b32_e32 v6, v1
	v_mad_u64_u32 v[6:7], s[0:1], s5, v7, v[6:7]
	v_mov_b32_e32 v1, v6
	v_lshl_add_u64 v[0:1], v[0:1], 4, v[22:23]
	global_store_dwordx4 v[0:1], v[2:5], off
	s_nop 1
	v_or_b32_e32 v3, 56, v26
	v_mad_u64_u32 v[0:1], s[0:1], s4, v3, 0
	v_mov_b32_e32 v2, v1
	v_mad_u64_u32 v[2:3], s[0:1], s5, v3, v[2:3]
	v_mov_b32_e32 v1, v2
	v_lshl_add_u64 v[0:1], v[0:1], 4, v[22:23]
	global_store_dwordx4 v[0:1], v[10:13], off
.LBB0_29:
	s_endpgm
	.section	.rodata,"a",@progbits
	.p2align	6, 0x0
	.amdhsa_kernel fft_rtc_back_len64_factors_8_8_wgs_256_tpt_8_dp_op_CI_CI_sbcc_twdbase8_3step_dirReg_intrinsicRead
		.amdhsa_group_segment_fixed_size 0
		.amdhsa_private_segment_fixed_size 0
		.amdhsa_kernarg_size 112
		.amdhsa_user_sgpr_count 2
		.amdhsa_user_sgpr_dispatch_ptr 0
		.amdhsa_user_sgpr_queue_ptr 0
		.amdhsa_user_sgpr_kernarg_segment_ptr 1
		.amdhsa_user_sgpr_dispatch_id 0
		.amdhsa_user_sgpr_kernarg_preload_length 0
		.amdhsa_user_sgpr_kernarg_preload_offset 0
		.amdhsa_user_sgpr_private_segment_size 0
		.amdhsa_uses_dynamic_stack 0
		.amdhsa_enable_private_segment 0
		.amdhsa_system_sgpr_workgroup_id_x 1
		.amdhsa_system_sgpr_workgroup_id_y 0
		.amdhsa_system_sgpr_workgroup_id_z 0
		.amdhsa_system_sgpr_workgroup_info 0
		.amdhsa_system_vgpr_workitem_id 0
		.amdhsa_next_free_vgpr 108
		.amdhsa_next_free_sgpr 51
		.amdhsa_accum_offset 108
		.amdhsa_reserve_vcc 1
		.amdhsa_float_round_mode_32 0
		.amdhsa_float_round_mode_16_64 0
		.amdhsa_float_denorm_mode_32 3
		.amdhsa_float_denorm_mode_16_64 3
		.amdhsa_dx10_clamp 1
		.amdhsa_ieee_mode 1
		.amdhsa_fp16_overflow 0
		.amdhsa_tg_split 0
		.amdhsa_exception_fp_ieee_invalid_op 0
		.amdhsa_exception_fp_denorm_src 0
		.amdhsa_exception_fp_ieee_div_zero 0
		.amdhsa_exception_fp_ieee_overflow 0
		.amdhsa_exception_fp_ieee_underflow 0
		.amdhsa_exception_fp_ieee_inexact 0
		.amdhsa_exception_int_div_zero 0
	.end_amdhsa_kernel
	.text
.Lfunc_end0:
	.size	fft_rtc_back_len64_factors_8_8_wgs_256_tpt_8_dp_op_CI_CI_sbcc_twdbase8_3step_dirReg_intrinsicRead, .Lfunc_end0-fft_rtc_back_len64_factors_8_8_wgs_256_tpt_8_dp_op_CI_CI_sbcc_twdbase8_3step_dirReg_intrinsicRead
                                        ; -- End function
	.section	.AMDGPU.csdata,"",@progbits
; Kernel info:
; codeLenInByte = 4992
; NumSgprs: 57
; NumVgprs: 108
; NumAgprs: 0
; TotalNumVgprs: 108
; ScratchSize: 0
; MemoryBound: 0
; FloatMode: 240
; IeeeMode: 1
; LDSByteSize: 0 bytes/workgroup (compile time only)
; SGPRBlocks: 7
; VGPRBlocks: 13
; NumSGPRsForWavesPerEU: 57
; NumVGPRsForWavesPerEU: 108
; AccumOffset: 108
; Occupancy: 4
; WaveLimiterHint : 1
; COMPUTE_PGM_RSRC2:SCRATCH_EN: 0
; COMPUTE_PGM_RSRC2:USER_SGPR: 2
; COMPUTE_PGM_RSRC2:TRAP_HANDLER: 0
; COMPUTE_PGM_RSRC2:TGID_X_EN: 1
; COMPUTE_PGM_RSRC2:TGID_Y_EN: 0
; COMPUTE_PGM_RSRC2:TGID_Z_EN: 0
; COMPUTE_PGM_RSRC2:TIDIG_COMP_CNT: 0
; COMPUTE_PGM_RSRC3_GFX90A:ACCUM_OFFSET: 26
; COMPUTE_PGM_RSRC3_GFX90A:TG_SPLIT: 0
	.text
	.p2alignl 6, 3212836864
	.fill 256, 4, 3212836864
	.type	__hip_cuid_cddc8adc0fcd52d4,@object ; @__hip_cuid_cddc8adc0fcd52d4
	.section	.bss,"aw",@nobits
	.globl	__hip_cuid_cddc8adc0fcd52d4
__hip_cuid_cddc8adc0fcd52d4:
	.byte	0                               ; 0x0
	.size	__hip_cuid_cddc8adc0fcd52d4, 1

	.ident	"AMD clang version 19.0.0git (https://github.com/RadeonOpenCompute/llvm-project roc-6.4.0 25133 c7fe45cf4b819c5991fe208aaa96edf142730f1d)"
	.section	".note.GNU-stack","",@progbits
	.addrsig
	.addrsig_sym __hip_cuid_cddc8adc0fcd52d4
	.amdgpu_metadata
---
amdhsa.kernels:
  - .agpr_count:     0
    .args:
      - .actual_access:  read_only
        .address_space:  global
        .offset:         0
        .size:           8
        .value_kind:     global_buffer
      - .address_space:  global
        .offset:         8
        .size:           8
        .value_kind:     global_buffer
      - .offset:         16
        .size:           8
        .value_kind:     by_value
      - .actual_access:  read_only
        .address_space:  global
        .offset:         24
        .size:           8
        .value_kind:     global_buffer
      - .actual_access:  read_only
        .address_space:  global
        .offset:         32
        .size:           8
        .value_kind:     global_buffer
      - .actual_access:  read_only
        .address_space:  global
        .offset:         40
        .size:           8
        .value_kind:     global_buffer
      - .offset:         48
        .size:           8
        .value_kind:     by_value
      - .actual_access:  read_only
        .address_space:  global
        .offset:         56
        .size:           8
        .value_kind:     global_buffer
      - .actual_access:  read_only
        .address_space:  global
        .offset:         64
        .size:           8
        .value_kind:     global_buffer
      - .offset:         72
        .size:           4
        .value_kind:     by_value
      - .actual_access:  read_only
        .address_space:  global
        .offset:         80
        .size:           8
        .value_kind:     global_buffer
      - .actual_access:  read_only
        .address_space:  global
        .offset:         88
        .size:           8
        .value_kind:     global_buffer
      - .actual_access:  read_only
        .address_space:  global
        .offset:         96
        .size:           8
        .value_kind:     global_buffer
      - .actual_access:  write_only
        .address_space:  global
        .offset:         104
        .size:           8
        .value_kind:     global_buffer
    .group_segment_fixed_size: 0
    .kernarg_segment_align: 8
    .kernarg_segment_size: 112
    .language:       OpenCL C
    .language_version:
      - 2
      - 0
    .max_flat_workgroup_size: 256
    .name:           fft_rtc_back_len64_factors_8_8_wgs_256_tpt_8_dp_op_CI_CI_sbcc_twdbase8_3step_dirReg_intrinsicRead
    .private_segment_fixed_size: 0
    .sgpr_count:     57
    .sgpr_spill_count: 0
    .symbol:         fft_rtc_back_len64_factors_8_8_wgs_256_tpt_8_dp_op_CI_CI_sbcc_twdbase8_3step_dirReg_intrinsicRead.kd
    .uniform_work_group_size: 1
    .uses_dynamic_stack: false
    .vgpr_count:     108
    .vgpr_spill_count: 0
    .wavefront_size: 64
amdhsa.target:   amdgcn-amd-amdhsa--gfx950
amdhsa.version:
  - 1
  - 2
...

	.end_amdgpu_metadata
